;; amdgpu-corpus repo=zjin-lcf/HeCBench kind=compiled arch=gfx906 opt=O3
	.amdgcn_target "amdgcn-amd-amdhsa--gfx906"
	.amdhsa_code_object_version 6
	.text
	.protected	_Z5colorPhiiff          ; -- Begin function _Z5colorPhiiff
	.globl	_Z5colorPhiiff
	.p2align	8
	.type	_Z5colorPhiiff,@function
_Z5colorPhiiff:                         ; @_Z5colorPhiiff
; %bb.0:
	s_add_u32 s0, s0, s8
	s_load_dword s12, s[4:5], 0x24
	s_load_dwordx4 s[8:11], s[4:5], 0x8
	s_addc_u32 s1, s1, 0
	s_waitcnt lgkmcnt(0)
	s_lshr_b32 s13, s12, 16
	s_mul_i32 s7, s7, s13
	v_add_u32_e32 v4, s7, v1
	s_and_b32 s7, s12, 0xffff
	s_mul_i32 s6, s6, s7
	v_add_u32_e32 v0, s6, v0
	v_max_i32_e32 v1, v4, v0
	v_cmp_gt_i32_e32 vcc, s8, v1
	s_and_saveexec_b64 s[6:7], vcc
	s_cbranch_execz .LBB0_3
; %bb.1:
	v_cmp_ne_u32_e32 vcc, s9, v0
	v_cmp_ne_u32_e64 s[6:7], s9, v4
	s_and_b64 s[6:7], s[6:7], vcc
	s_and_b64 exec, exec, s[6:7]
	s_cbranch_execz .LBB0_3
; %bb.2:
	v_cvt_f32_i32_e32 v5, v4
	v_cvt_f32_i32_e32 v6, s9
	;; [unrolled: 1-line block ×3, first 2 shown]
	v_div_scale_f32 v1, s[6:7], v6, v6, v5
	v_div_scale_f32 v2, s[6:7], v6, v6, v7
	v_div_scale_f32 v3, vcc, v5, v6, v5
	v_div_scale_f32 v8, s[6:7], v7, v6, v7
	v_rcp_f32_e32 v9, v1
	v_rcp_f32_e32 v10, v2
	v_fma_f32 v11, -v1, v9, 1.0
	v_fmac_f32_e32 v9, v11, v9
	v_fma_f32 v12, -v2, v10, 1.0
	v_fmac_f32_e32 v10, v12, v10
	v_mul_f32_e32 v11, v3, v9
	v_mul_f32_e32 v12, v8, v10
	v_fma_f32 v13, -v1, v11, v3
	v_fma_f32 v14, -v2, v12, v8
	v_fmac_f32_e32 v11, v13, v9
	v_fmac_f32_e32 v12, v14, v10
	v_fma_f32 v1, -v1, v11, v3
	v_fma_f32 v2, -v2, v12, v8
	v_div_fmas_f32 v8, v1, v9, v11
	s_mov_b64 vcc, s[6:7]
	v_div_fmas_f32 v9, v2, v10, v12
	s_load_dwordx2 s[6:7], s[4:5], 0x0
	v_ashrrev_i32_e32 v1, 31, v0
	v_mad_i64_i32 v[0:1], s[8:9], v4, s8, v[0:1]
	v_mov_b32_e32 v2, 0xff
	v_mov_b32_e32 v10, 17
	;; [unrolled: 1-line block ×3, first 2 shown]
	buffer_store_dword v2, off, s[0:3], 0
	buffer_store_dword v3, off, s[0:3], 0 offset:4
	buffer_store_dword v3, off, s[0:3], 0 offset:8
	;; [unrolled: 1-line block ×5, first 2 shown]
	v_mov_b32_e32 v14, 0x66
	v_mov_b32_e32 v11, 34
	;; [unrolled: 1-line block ×4, first 2 shown]
	v_div_fixup_f32 v5, v8, v6, v5
	v_fma_f32 v5, s10, v5, -s10
	v_div_fixup_f32 v6, v9, v6, v7
	v_fma_f32 v6, s10, v6, -s10
	v_div_scale_f32 v7, s[4:5], s11, s11, v5
	v_div_scale_f32 v9, s[4:5], s11, s11, v6
	;; [unrolled: 1-line block ×3, first 2 shown]
	v_div_scale_f32 v16, vcc, v6, s11, v6
	v_mov_b32_e32 v8, 0x55
	buffer_store_dword v2, off, s[0:3], 0 offset:24
	buffer_store_dword v11, off, s[0:3], 0 offset:28
	;; [unrolled: 1-line block ×16, first 2 shown]
	v_mov_b32_e32 v11, 0xd5
	v_mov_b32_e32 v12, 0x80
	;; [unrolled: 1-line block ×3, first 2 shown]
	s_movk_i32 s8, 0x204
	s_mov_b32 s10, 0x40490fdb
	v_rcp_f32_e32 v4, v7
	v_rcp_f32_e32 v17, v9
	v_fma_f32 v10, -v7, v4, 1.0
	v_fmac_f32_e32 v4, v10, v4
	v_fma_f32 v18, -v9, v17, 1.0
	v_fmac_f32_e32 v17, v18, v17
	v_mul_f32_e32 v10, v15, v4
	v_mul_f32_e32 v18, v16, v17
	v_fma_f32 v19, -v7, v10, v15
	v_fmac_f32_e32 v10, v19, v4
	v_fma_f32 v19, -v9, v18, v16
	v_fmac_f32_e32 v18, v19, v17
	v_fma_f32 v9, -v9, v18, v16
	v_fma_f32 v7, -v7, v10, v15
	v_div_fmas_f32 v9, v9, v17, v18
	s_mov_b64 vcc, s[4:5]
	v_div_fmas_f32 v4, v7, v4, v10
	v_mov_b32_e32 v10, 0xaa
	v_div_fixup_f32 v9, v9, s11, v6
	v_div_fixup_f32 v7, v4, s11, v5
	v_max_f32_e64 v14, |v9|, |v7|
	v_frexp_mant_f32_e32 v15, v14
	v_rcp_f32_e32 v15, v15
	v_min_f32_e64 v6, |v9|, |v7|
	v_frexp_exp_i32_f32_e32 v14, v14
	v_frexp_exp_i32_f32_e32 v16, v6
	v_frexp_mant_f32_e32 v6, v6
	v_mul_f32_e32 v6, v6, v15
	v_sub_u32_e32 v14, v16, v14
	v_ldexp_f32 v6, v6, v14
	v_mul_f32_e32 v14, v6, v6
	v_mov_b32_e32 v15, 0xbc7a590c
	v_fmac_f32_e32 v15, 0x3b2d2a58, v14
	v_mov_b32_e32 v16, 0x3d29fb3f
	v_fmac_f32_e32 v16, v14, v15
	;; [unrolled: 2-line block ×4, first 2 shown]
	v_mov_b32_e32 v15, 0xbe1160e6
	v_mov_b32_e32 v4, 0x77
	v_fmac_f32_e32 v15, v14, v16
	v_mov_b32_e32 v16, 0x3e4cb8bf
	buffer_store_dword v4, off, s[0:3], 0 offset:88
	buffer_store_dword v3, off, s[0:3], 0 offset:92
	;; [unrolled: 1-line block ×3, first 2 shown]
	v_mov_b32_e32 v4, 0x88
	v_fmac_f32_e32 v16, v14, v15
	v_mov_b32_e32 v15, 0xbeaaaa62
	buffer_store_dword v4, off, s[0:3], 0 offset:100
	buffer_store_dword v3, off, s[0:3], 0 offset:104
	buffer_store_dword v2, off, s[0:3], 0 offset:108
	v_mov_b32_e32 v4, 0x99
	v_fmac_f32_e32 v15, v14, v16
	buffer_store_dword v4, off, s[0:3], 0 offset:112
	buffer_store_dword v3, off, s[0:3], 0 offset:116
	;; [unrolled: 1-line block ×3, first 2 shown]
	v_mov_b32_e32 v4, 0xbb
	v_mul_f32_e32 v14, v14, v15
	buffer_store_dword v10, off, s[0:3], 0 offset:124
	buffer_store_dword v3, off, s[0:3], 0 offset:128
	;; [unrolled: 1-line block ×6, first 2 shown]
	v_mov_b32_e32 v4, 0xcc
	v_fmac_f32_e32 v6, v6, v14
	buffer_store_dword v4, off, s[0:3], 0 offset:148
	buffer_store_dword v3, off, s[0:3], 0 offset:152
	;; [unrolled: 1-line block ×3, first 2 shown]
	v_mov_b32_e32 v4, 0xdd
	v_sub_f32_e32 v14, 0x3fc90fdb, v6
	v_cmp_gt_f32_e64 vcc, |v7|, |v9|
	buffer_store_dword v4, off, s[0:3], 0 offset:160
	buffer_store_dword v3, off, s[0:3], 0 offset:164
	;; [unrolled: 1-line block ×3, first 2 shown]
	v_mov_b32_e32 v4, 0xee
	v_cndmask_b32_e32 v6, v6, v14, vcc
	buffer_store_dword v4, off, s[0:3], 0 offset:172
	buffer_store_dword v3, off, s[0:3], 0 offset:176
	;; [unrolled: 1-line block ×5, first 2 shown]
	v_mov_b32_e32 v4, 63
	v_xor_b32_e32 v5, 0x80000000, v9
	v_sub_f32_e32 v14, 0x40490fdb, v6
	v_cmp_lt_f32_e32 vcc, 0, v9
	buffer_store_dword v11, off, s[0:3], 0 offset:192
	buffer_store_dword v2, off, s[0:3], 0 offset:196
	;; [unrolled: 1-line block ×23, first 2 shown]
	v_mov_b32_e32 v4, 0x7f
	v_cndmask_b32_e32 v6, v6, v14, vcc
	v_mov_b32_e32 v14, 0x40490fdb
	v_cmp_gt_i32_e64 s[4:5], 0, v5
	buffer_store_dword v4, off, s[0:3], 0 offset:284
	buffer_store_dword v3, off, s[0:3], 0 offset:288
	;; [unrolled: 1-line block ×3, first 2 shown]
	v_mov_b32_e32 v4, 0xbf
	v_cndmask_b32_e64 v5, 0, v14, s[4:5]
	v_cmp_eq_f32_e64 s[4:5], 0, v7
	buffer_store_dword v4, off, s[0:3], 0 offset:296
	buffer_store_dword v3, off, s[0:3], 0 offset:300
	;; [unrolled: 1-line block ×5, first 2 shown]
	v_mov_b32_e32 v4, 0xe8
	v_cndmask_b32_e64 v5, v6, v5, s[4:5]
	v_mov_b32_e32 v6, 0x3f490fdb
	v_mov_b32_e32 v14, 0x4016cbe4
	v_cmp_class_f32_e64 s[4:5], v9, s8
	v_cmp_class_f32_e64 s[8:9], v7, s8
	buffer_store_dword v4, off, s[0:3], 0 offset:316
	buffer_store_dword v2, off, s[0:3], 0 offset:320
	;; [unrolled: 1-line block ×3, first 2 shown]
	v_mov_b32_e32 v4, 0xd1
	v_cndmask_b32_e32 v6, v6, v14, vcc
	s_and_b64 vcc, s[8:9], s[4:5]
	buffer_store_dword v4, off, s[0:3], 0 offset:328
	buffer_store_dword v2, off, s[0:3], 0 offset:332
	;; [unrolled: 1-line block ×3, first 2 shown]
	v_mov_b32_e32 v4, 0xba
	v_cndmask_b32_e32 v5, v5, v6, vcc
	v_mov_b32_e32 v6, 0x7fc00000
	v_cmp_o_f32_e32 vcc, v9, v7
	buffer_store_dword v4, off, s[0:3], 0 offset:340
	buffer_store_dword v2, off, s[0:3], 0 offset:344
	;; [unrolled: 1-line block ×5, first 2 shown]
	v_xor_b32_e32 v4, 0x80000000, v7
	v_cndmask_b32_e32 v5, v6, v5, vcc
	s_brev_b32 s4, -2
	v_bfi_b32 v4, s4, v5, v4
	v_div_scale_f32 v5, s[4:5], s10, s10, v4
	v_div_scale_f32 v6, vcc, v4, s10, v4
	v_mov_b32_e32 v14, 19
	buffer_store_dword v3, off, s[0:3], 0 offset:384
	buffer_store_dword v3, off, s[0:3], 0 offset:396
	;; [unrolled: 1-line block ×5, first 2 shown]
	v_mov_b32_e32 v14, 39
	buffer_store_dword v14, off, s[0:3], 0 offset:456
	v_mov_b32_e32 v14, 58
	buffer_store_dword v14, off, s[0:3], 0 offset:468
	;; [unrolled: 2-line block ×4, first 2 shown]
	v_mov_b32_e32 v15, 0x75
	v_rcp_f32_e32 v14, v5
	buffer_store_dword v15, off, s[0:3], 0 offset:504
	s_mov_b32 s4, 0
	buffer_store_dword v3, off, s[0:3], 0 offset:432
	v_fma_f32 v16, -v5, v14, 1.0
	v_fmac_f32_e32 v14, v16, v14
	v_mul_f32_e32 v16, v6, v14
	v_fma_f32 v17, -v5, v16, v6
	v_fmac_f32_e32 v16, v17, v14
	v_fma_f32 v5, -v5, v16, v6
	v_div_fmas_f32 v5, v5, v14, v16
	v_mov_b32_e32 v6, 0x89
	buffer_store_dword v6, off, s[0:3], 0 offset:516
	v_mov_b32_e32 v6, 0x9c
	buffer_store_dword v6, off, s[0:3], 0 offset:528
	;; [unrolled: 2-line block ×6, first 2 shown]
	buffer_store_dword v2, off, s[0:3], 0 offset:588
	buffer_store_dword v2, off, s[0:3], 0 offset:600
	;; [unrolled: 1-line block ×6, first 2 shown]
	v_mov_b32_e32 v17, 0x8c
	v_div_fixup_f32 v4, v5, s10, v4
	v_add_f32_e32 v4, 1.0, v4
	v_mul_f32_e32 v14, 0.5, v4
	v_mul_f32_e32 v4, 0x42580000, v14
	v_cvt_i32_f32_e32 v15, v4
	v_mad_u64_u32 v[4:5], s[8:9], v15, 12, s[4:5]
	v_mov_b32_e32 v5, 0xa3
	s_mov_b32 s5, 0x94f2095
	buffer_load_dword v16, v4, s[0:3], 0 offen
	s_nop 0
	buffer_store_dword v5, off, s[0:3], 0 offset:352
	buffer_store_dword v2, off, s[0:3], 0 offset:356
	v_add_u32_e32 v5, 1, v15
	v_mul_hi_i32 v6, v5, s5
	buffer_store_dword v17, off, s[0:3], 0 offset:364
	buffer_store_dword v2, off, s[0:3], 0 offset:368
	s_mov_b32 s8, 0x437f0000
	v_lshrrev_b32_e32 v17, 31, v6
	v_lshrrev_b32_e32 v6, 1, v6
	v_add_u32_e32 v6, v6, v17
	v_mul_lo_u32 v6, v6, 55
	v_mov_b32_e32 v17, 0x74
	buffer_store_dword v17, off, s[0:3], 0 offset:376
	buffer_store_dword v2, off, s[0:3], 0 offset:380
	v_mov_b32_e32 v17, 0x46
	v_sub_u32_e32 v5, v5, v6
	v_mad_u64_u32 v[5:6], s[4:5], v5, 12, s[4:5]
	v_mov_b32_e32 v6, 0x5d
	buffer_store_dword v6, off, s[0:3], 0 offset:388
	buffer_store_dword v2, off, s[0:3], 0 offset:392
	buffer_load_dword v6, v5, s[0:3], 0 offen
	s_nop 0
	buffer_store_dword v17, off, s[0:3], 0 offset:400
	buffer_store_dword v2, off, s[0:3], 0 offset:404
	v_mov_b32_e32 v17, 47
	buffer_store_dword v17, off, s[0:3], 0 offset:412
	buffer_store_dword v2, off, s[0:3], 0 offset:416
	v_mov_b32_e32 v17, 24
	buffer_store_dword v17, off, s[0:3], 0 offset:424
	buffer_store_dword v2, off, s[0:3], 0 offset:428
	;; [unrolled: 1-line block ×22, first 2 shown]
	buffer_load_dword v17, v4, s[0:3], 0 offen offset:4
	s_nop 0
	buffer_store_dword v2, off, s[0:3], 0 offset:452
	buffer_store_dword v2, off, s[0:3], 0 offset:464
	;; [unrolled: 1-line block ×12, first 2 shown]
	buffer_load_dword v18, v5, s[0:3], 0 offen offset:4
	s_nop 0
	buffer_store_dword v2, off, s[0:3], 0 offset:596
	buffer_store_dword v11, off, s[0:3], 0 offset:608
	;; [unrolled: 1-line block ×6, first 2 shown]
	s_waitcnt lgkmcnt(0)
	v_mad_u64_u32 v[2:3], s[4:5], v0, 3, s[6:7]
	v_mul_f32_e32 v0, v9, v9
	buffer_load_dword v8, v5, s[0:3], 0 offen offset:8
	buffer_load_dword v9, v4, s[0:3], 0 offen offset:8
	v_fmac_f32_e32 v0, v7, v7
	s_mov_b32 s6, 0xf800000
	v_mul_f32_e32 v5, 0x4f800000, v0
	v_cmp_gt_f32_e32 vcc, s6, v0
	v_cndmask_b32_e32 v5, v0, v5, vcc
	v_mov_b32_e32 v0, v3
	v_mad_u64_u32 v[0:1], s[4:5], v1, 3, v[0:1]
	v_sqrt_f32_e32 v10, v5
	v_add_u32_e32 v1, -1, v10
	v_fma_f32 v11, -v1, v10, v5
	v_cmp_ge_f32_e64 s[6:7], 0, v11
	v_add_u32_e32 v11, 1, v10
	v_cndmask_b32_e64 v1, v10, v1, s[6:7]
	v_fma_f32 v10, -v11, v10, v5
	v_cmp_lt_f32_e64 s[6:7], 0, v10
	v_cndmask_b32_e64 v1, v1, v11, s[6:7]
	v_mul_f32_e32 v11, 0x37800000, v1
	v_cndmask_b32_e32 v1, v1, v11, vcc
	s_waitcnt vmcnt(57)
	v_cvt_f32_i32_e32 v4, v16
	v_div_scale_f32 v7, s[4:5], s8, s8, v4
	v_div_scale_f32 v3, s[4:5], v4, s8, v4
	s_mov_b64 vcc, s[4:5]
	s_waitcnt vmcnt(48)
	v_cvt_f32_i32_e32 v6, v6
	v_rcp_f32_e32 v10, v7
	v_div_scale_f32 v12, s[6:7], s8, s8, v6
	v_fma_f32 v11, -v7, v10, 1.0
	v_fmac_f32_e32 v10, v11, v10
	v_mul_f32_e32 v11, v3, v10
	v_fma_f32 v13, -v7, v11, v3
	v_fmac_f32_e32 v11, v13, v10
	v_div_scale_f32 v13, s[6:7], v6, s8, v6
	v_fma_f32 v3, -v7, v11, v3
	v_div_fmas_f32 v3, v3, v10, v11
	s_mov_b64 vcc, s[6:7]
	s_waitcnt vmcnt(0)
	v_cvt_f32_i32_e32 v9, v9
	v_cvt_f32_i32_e32 v8, v8
	v_rcp_f32_e32 v7, v12
	v_fma_f32 v10, -v12, v7, 1.0
	v_fmac_f32_e32 v7, v10, v7
	v_mul_f32_e32 v10, v13, v7
	v_fma_f32 v11, -v12, v10, v13
	v_fmac_f32_e32 v10, v11, v7
	v_fma_f32 v11, -v12, v10, v13
	v_cvt_f32_i32_e32 v12, v17
	v_div_fmas_f32 v7, v11, v7, v10
	v_cvt_f32_i32_e32 v13, v15
	v_mov_b32_e32 v10, 0x260
	v_div_scale_f32 v11, s[4:5], s8, s8, v12
	v_cmp_class_f32_e32 vcc, v5, v10
	s_mov_b32 s4, 0x42580000
	v_cndmask_b32_e32 v1, v1, v5, vcc
	v_fma_f32 v5, v14, s4, -v13
	v_cvt_f32_i32_e32 v13, v18
	v_div_scale_f32 v10, vcc, v12, s8, v12
	v_div_fixup_f32 v3, v3, s8, v4
	v_div_scale_f32 v4, s[4:5], s8, s8, v13
	v_sub_f32_e32 v14, 1.0, v5
	v_div_fixup_f32 v6, v7, s8, v6
	v_mul_f32_e32 v6, v5, v6
	v_fmac_f32_e32 v6, v14, v3
	v_rcp_f32_e32 v3, v11
	v_div_scale_f32 v7, s[4:5], v13, s8, v13
	v_fma_f32 v15, -v11, v3, 1.0
	v_fmac_f32_e32 v3, v15, v3
	v_div_scale_f32 v15, s[6:7], s8, s8, v9
	v_mul_f32_e32 v16, v10, v3
	v_fma_f32 v17, -v11, v16, v10
	v_fmac_f32_e32 v16, v17, v3
	v_div_scale_f32 v17, s[6:7], v9, s8, v9
	v_fma_f32 v10, -v11, v16, v10
	v_rcp_f32_e32 v11, v4
	v_div_fmas_f32 v3, v10, v3, v16
	s_mov_b64 vcc, s[4:5]
	v_fma_f32 v10, -v4, v11, 1.0
	v_fmac_f32_e32 v11, v10, v11
	v_mul_f32_e32 v10, v7, v11
	v_fma_f32 v16, -v4, v10, v7
	v_fmac_f32_e32 v10, v16, v11
	v_fma_f32 v4, -v4, v10, v7
	v_rcp_f32_e32 v7, v15
	v_div_fmas_f32 v4, v4, v11, v10
	v_div_scale_f32 v11, s[4:5], s8, s8, v8
	v_fma_f32 v10, -v15, v7, 1.0
	v_fmac_f32_e32 v7, v10, v7
	v_mul_f32_e32 v10, v17, v7
	v_fma_f32 v16, -v15, v10, v17
	v_fmac_f32_e32 v10, v16, v7
	v_div_scale_f32 v16, s[4:5], v8, s8, v8
	v_fma_f32 v15, -v15, v10, v17
	s_mov_b64 vcc, s[6:7]
	v_div_fmas_f32 v7, v15, v7, v10
	s_mov_b64 vcc, s[4:5]
	v_div_fixup_f32 v3, v3, s8, v12
	v_div_fixup_f32 v4, v4, s8, v13
	v_rcp_f32_e32 v17, v11
	v_mul_f32_e32 v4, v5, v4
	v_fmac_f32_e32 v4, v14, v3
	v_sub_f32_e32 v3, 1.0, v4
	v_fma_f32 v10, -v11, v17, 1.0
	v_fmac_f32_e32 v17, v10, v17
	v_fma_f32 v3, -v1, v3, 1.0
	v_mul_f32_e32 v10, v16, v17
	v_fma_f32 v15, -v11, v10, v16
	v_fmac_f32_e32 v10, v15, v17
	v_fma_f32 v11, -v11, v10, v16
	v_div_fmas_f32 v10, v11, v17, v10
	v_cmp_nge_f32_e32 vcc, 1.0, v1
	v_mul_f32_e32 v4, 0x3f400000, v4
	v_cndmask_b32_e32 v3, v3, v4, vcc
	v_mul_f32_e32 v3, 0x437f0000, v3
	v_cvt_i32_f32_sdwa v4, v3 dst_sel:BYTE_1 dst_unused:UNUSED_PAD src0_sel:DWORD
	v_div_fixup_f32 v3, v7, s8, v9
	v_sub_f32_e32 v15, 1.0, v6
	v_fma_f32 v15, -v1, v15, 1.0
	v_mul_f32_e32 v6, 0x3f400000, v6
	v_cndmask_b32_e32 v6, v15, v6, vcc
	v_mul_f32_e32 v6, 0x437f0000, v6
	v_div_fixup_f32 v7, v10, s8, v8
	v_mul_f32_e32 v5, v5, v7
	v_fmac_f32_e32 v5, v14, v3
	v_sub_f32_e32 v3, 1.0, v5
	v_fma_f32 v1, -v1, v3, 1.0
	v_mul_f32_e32 v3, 0x3f400000, v5
	v_cndmask_b32_e32 v1, v1, v3, vcc
	v_mul_f32_e32 v1, 0x437f0000, v1
	v_cvt_i32_f32_e32 v1, v1
	v_cvt_i32_f32_e32 v5, v6
	v_mov_b32_e32 v3, v0
	v_or_b32_sdwa v0, v1, v4 dst_sel:DWORD dst_unused:UNUSED_PAD src0_sel:BYTE_0 src1_sel:DWORD
	global_store_byte v[2:3], v5, off offset:2
	global_store_short v[2:3], v0, off
.LBB0_3:
	s_endpgm
	.section	.rodata,"a",@progbits
	.p2align	6, 0x0
	.amdhsa_kernel _Z5colorPhiiff
		.amdhsa_group_segment_fixed_size 0
		.amdhsa_private_segment_fixed_size 672
		.amdhsa_kernarg_size 280
		.amdhsa_user_sgpr_count 6
		.amdhsa_user_sgpr_private_segment_buffer 1
		.amdhsa_user_sgpr_dispatch_ptr 0
		.amdhsa_user_sgpr_queue_ptr 0
		.amdhsa_user_sgpr_kernarg_segment_ptr 1
		.amdhsa_user_sgpr_dispatch_id 0
		.amdhsa_user_sgpr_flat_scratch_init 0
		.amdhsa_user_sgpr_private_segment_size 0
		.amdhsa_uses_dynamic_stack 0
		.amdhsa_system_sgpr_private_segment_wavefront_offset 1
		.amdhsa_system_sgpr_workgroup_id_x 1
		.amdhsa_system_sgpr_workgroup_id_y 1
		.amdhsa_system_sgpr_workgroup_id_z 0
		.amdhsa_system_sgpr_workgroup_info 0
		.amdhsa_system_vgpr_workitem_id 1
		.amdhsa_next_free_vgpr 20
		.amdhsa_next_free_sgpr 14
		.amdhsa_reserve_vcc 1
		.amdhsa_reserve_flat_scratch 0
		.amdhsa_float_round_mode_32 0
		.amdhsa_float_round_mode_16_64 0
		.amdhsa_float_denorm_mode_32 3
		.amdhsa_float_denorm_mode_16_64 3
		.amdhsa_dx10_clamp 1
		.amdhsa_ieee_mode 1
		.amdhsa_fp16_overflow 0
		.amdhsa_exception_fp_ieee_invalid_op 0
		.amdhsa_exception_fp_denorm_src 0
		.amdhsa_exception_fp_ieee_div_zero 0
		.amdhsa_exception_fp_ieee_overflow 0
		.amdhsa_exception_fp_ieee_underflow 0
		.amdhsa_exception_fp_ieee_inexact 0
		.amdhsa_exception_int_div_zero 0
	.end_amdhsa_kernel
	.text
.Lfunc_end0:
	.size	_Z5colorPhiiff, .Lfunc_end0-_Z5colorPhiiff
                                        ; -- End function
	.set _Z5colorPhiiff.num_vgpr, 20
	.set _Z5colorPhiiff.num_agpr, 0
	.set _Z5colorPhiiff.numbered_sgpr, 14
	.set _Z5colorPhiiff.num_named_barrier, 0
	.set _Z5colorPhiiff.private_seg_size, 672
	.set _Z5colorPhiiff.uses_vcc, 1
	.set _Z5colorPhiiff.uses_flat_scratch, 0
	.set _Z5colorPhiiff.has_dyn_sized_stack, 0
	.set _Z5colorPhiiff.has_recursion, 0
	.set _Z5colorPhiiff.has_indirect_call, 0
	.section	.AMDGPU.csdata,"",@progbits
; Kernel info:
; codeLenInByte = 3452
; TotalNumSgprs: 18
; NumVgprs: 20
; ScratchSize: 672
; MemoryBound: 1
; FloatMode: 240
; IeeeMode: 1
; LDSByteSize: 0 bytes/workgroup (compile time only)
; SGPRBlocks: 2
; VGPRBlocks: 4
; NumSGPRsForWavesPerEU: 18
; NumVGPRsForWavesPerEU: 20
; Occupancy: 10
; WaveLimiterHint : 1
; COMPUTE_PGM_RSRC2:SCRATCH_EN: 1
; COMPUTE_PGM_RSRC2:USER_SGPR: 6
; COMPUTE_PGM_RSRC2:TRAP_HANDLER: 0
; COMPUTE_PGM_RSRC2:TGID_X_EN: 1
; COMPUTE_PGM_RSRC2:TGID_Y_EN: 1
; COMPUTE_PGM_RSRC2:TGID_Z_EN: 0
; COMPUTE_PGM_RSRC2:TIDIG_COMP_CNT: 1
	.section	.AMDGPU.gpr_maximums,"",@progbits
	.set amdgpu.max_num_vgpr, 0
	.set amdgpu.max_num_agpr, 0
	.set amdgpu.max_num_sgpr, 0
	.section	.AMDGPU.csdata,"",@progbits
	.type	__hip_cuid_2893910bb3ea9e58,@object ; @__hip_cuid_2893910bb3ea9e58
	.section	.bss,"aw",@nobits
	.globl	__hip_cuid_2893910bb3ea9e58
__hip_cuid_2893910bb3ea9e58:
	.byte	0                               ; 0x0
	.size	__hip_cuid_2893910bb3ea9e58, 1

	.ident	"AMD clang version 22.0.0git (https://github.com/RadeonOpenCompute/llvm-project roc-7.2.4 26084 f58b06dce1f9c15707c5f808fd002e18c2accf7e)"
	.section	".note.GNU-stack","",@progbits
	.addrsig
	.addrsig_sym __hip_cuid_2893910bb3ea9e58
	.amdgpu_metadata
---
amdhsa.kernels:
  - .args:
      - .address_space:  global
        .offset:         0
        .size:           8
        .value_kind:     global_buffer
      - .offset:         8
        .size:           4
        .value_kind:     by_value
      - .offset:         12
        .size:           4
        .value_kind:     by_value
      - .offset:         16
        .size:           4
        .value_kind:     by_value
      - .offset:         20
        .size:           4
        .value_kind:     by_value
      - .offset:         24
        .size:           4
        .value_kind:     hidden_block_count_x
      - .offset:         28
        .size:           4
        .value_kind:     hidden_block_count_y
      - .offset:         32
        .size:           4
        .value_kind:     hidden_block_count_z
      - .offset:         36
        .size:           2
        .value_kind:     hidden_group_size_x
      - .offset:         38
        .size:           2
        .value_kind:     hidden_group_size_y
      - .offset:         40
        .size:           2
        .value_kind:     hidden_group_size_z
      - .offset:         42
        .size:           2
        .value_kind:     hidden_remainder_x
      - .offset:         44
        .size:           2
        .value_kind:     hidden_remainder_y
      - .offset:         46
        .size:           2
        .value_kind:     hidden_remainder_z
      - .offset:         64
        .size:           8
        .value_kind:     hidden_global_offset_x
      - .offset:         72
        .size:           8
        .value_kind:     hidden_global_offset_y
      - .offset:         80
        .size:           8
        .value_kind:     hidden_global_offset_z
      - .offset:         88
        .size:           2
        .value_kind:     hidden_grid_dims
    .group_segment_fixed_size: 0
    .kernarg_segment_align: 8
    .kernarg_segment_size: 280
    .language:       OpenCL C
    .language_version:
      - 2
      - 0
    .max_flat_workgroup_size: 1024
    .name:           _Z5colorPhiiff
    .private_segment_fixed_size: 672
    .sgpr_count:     18
    .sgpr_spill_count: 0
    .symbol:         _Z5colorPhiiff.kd
    .uniform_work_group_size: 1
    .uses_dynamic_stack: false
    .vgpr_count:     20
    .vgpr_spill_count: 0
    .wavefront_size: 64
amdhsa.target:   amdgcn-amd-amdhsa--gfx906
amdhsa.version:
  - 1
  - 2
...

	.end_amdgpu_metadata
